;; amdgpu-corpus repo=LLNL/RAJAPerf kind=compiled arch=gfx1250 opt=O3
	.amdgcn_target "amdgcn-amd-amdhsa--gfx1250"
	.amdhsa_code_object_version 6
	.section	.text._ZN8rajaperf9polybench12poly_gesummvILm256EEEvPdS2_S2_S2_ddl,"axG",@progbits,_ZN8rajaperf9polybench12poly_gesummvILm256EEEvPdS2_S2_S2_ddl,comdat
	.protected	_ZN8rajaperf9polybench12poly_gesummvILm256EEEvPdS2_S2_S2_ddl ; -- Begin function _ZN8rajaperf9polybench12poly_gesummvILm256EEEvPdS2_S2_S2_ddl
	.globl	_ZN8rajaperf9polybench12poly_gesummvILm256EEEvPdS2_S2_S2_ddl
	.p2align	8
	.type	_ZN8rajaperf9polybench12poly_gesummvILm256EEEvPdS2_S2_S2_ddl,@function
_ZN8rajaperf9polybench12poly_gesummvILm256EEEvPdS2_S2_S2_ddl: ; @_ZN8rajaperf9polybench12poly_gesummvILm256EEEvPdS2_S2_S2_ddl
; %bb.0:
	s_load_b128 s[12:15], s[0:1], 0x30
	s_bfe_u32 s2, ttmp6, 0x4000c
	s_and_b32 s3, ttmp6, 15
	s_add_co_i32 s2, s2, 1
	s_getreg_b32 s4, hwreg(HW_REG_IB_STS2, 6, 4)
	s_mul_i32 s2, ttmp9, s2
	s_delay_alu instid0(SALU_CYCLE_1) | instskip(SKIP_3) | instid1(SALU_CYCLE_1)
	s_add_co_i32 s2, s3, s2
	s_cmp_eq_u32 s4, 0
	s_mov_b32 s3, 0
	s_cselect_b32 s2, ttmp9, s2
	s_lshl_b64 s[2:3], s[2:3], 8
	s_delay_alu instid0(SALU_CYCLE_1) | instskip(SKIP_2) | instid1(VALU_DEP_1)
	v_dual_mov_b32 v1, s3 :: v_dual_bitop2_b32 v0, s2, v0 bitop3:0x54
	s_mov_b32 s2, exec_lo
	s_wait_kmcnt 0x0
	v_cmpx_gt_i64_e64 s[12:13], v[0:1]
	s_cbranch_execz .LBB0_4
; %bb.1:
	v_mul_u64_e32 v[2:3], s[12:13], v[0:1]
	s_clause 0x1
	s_load_b256 s[4:11], s[0:1], 0x0
	s_load_b128 s[16:19], s[0:1], 0x20
	s_delay_alu instid0(VALU_DEP_1) | instskip(SKIP_2) | instid1(VALU_DEP_2)
	v_lshlrev_b64_e32 v[4:5], 3, v[2:3]
	v_mov_b64_e32 v[2:3], 0
	s_wait_kmcnt 0x0
	v_add_nc_u64_e32 v[6:7], s[8:9], v[4:5]
	v_add_nc_u64_e32 v[8:9], s[10:11], v[4:5]
	v_mov_b64_e32 v[4:5], 0
.LBB0_2:                                ; =>This Inner Loop Header: Depth=1
	global_load_b64 v[10:11], v[6:7], off
	global_load_b64 v[12:13], v[8:9], off
	s_load_b64 s[0:1], s[4:5], 0x0
	v_add_nc_u64_e32 v[6:7], 8, v[6:7]
	v_add_nc_u64_e32 v[8:9], 8, v[8:9]
	s_add_nc_u64 s[12:13], s[12:13], -1
	s_wait_xcnt 0x0
	s_add_nc_u64 s[4:5], s[4:5], 8
	s_cmp_eq_u64 s[12:13], 0
	s_wait_loadcnt 0x1
	s_wait_kmcnt 0x0
	v_fmac_f64_e32 v[4:5], s[0:1], v[10:11]
	s_wait_loadcnt 0x0
	v_fmac_f64_e32 v[2:3], s[0:1], v[12:13]
	s_cbranch_scc0 .LBB0_2
; %bb.3:
	s_delay_alu instid0(VALU_DEP_1) | instskip(SKIP_1) | instid1(VALU_DEP_2)
	v_mul_f64_e32 v[2:3], s[18:19], v[2:3]
	v_lshl_add_u64 v[0:1], v[0:1], 3, s[6:7]
	v_fmac_f64_e32 v[2:3], s[16:17], v[4:5]
	global_store_b64 v[0:1], v[2:3], off
.LBB0_4:
	s_endpgm
	.section	.rodata,"a",@progbits
	.p2align	6, 0x0
	.amdhsa_kernel _ZN8rajaperf9polybench12poly_gesummvILm256EEEvPdS2_S2_S2_ddl
		.amdhsa_group_segment_fixed_size 0
		.amdhsa_private_segment_fixed_size 0
		.amdhsa_kernarg_size 56
		.amdhsa_user_sgpr_count 2
		.amdhsa_user_sgpr_dispatch_ptr 0
		.amdhsa_user_sgpr_queue_ptr 0
		.amdhsa_user_sgpr_kernarg_segment_ptr 1
		.amdhsa_user_sgpr_dispatch_id 0
		.amdhsa_user_sgpr_kernarg_preload_length 0
		.amdhsa_user_sgpr_kernarg_preload_offset 0
		.amdhsa_user_sgpr_private_segment_size 0
		.amdhsa_wavefront_size32 1
		.amdhsa_uses_dynamic_stack 0
		.amdhsa_enable_private_segment 0
		.amdhsa_system_sgpr_workgroup_id_x 1
		.amdhsa_system_sgpr_workgroup_id_y 0
		.amdhsa_system_sgpr_workgroup_id_z 0
		.amdhsa_system_sgpr_workgroup_info 0
		.amdhsa_system_vgpr_workitem_id 0
		.amdhsa_next_free_vgpr 14
		.amdhsa_next_free_sgpr 20
		.amdhsa_named_barrier_count 0
		.amdhsa_reserve_vcc 0
		.amdhsa_float_round_mode_32 0
		.amdhsa_float_round_mode_16_64 0
		.amdhsa_float_denorm_mode_32 3
		.amdhsa_float_denorm_mode_16_64 3
		.amdhsa_fp16_overflow 0
		.amdhsa_memory_ordered 1
		.amdhsa_forward_progress 1
		.amdhsa_inst_pref_size 3
		.amdhsa_round_robin_scheduling 0
		.amdhsa_exception_fp_ieee_invalid_op 0
		.amdhsa_exception_fp_denorm_src 0
		.amdhsa_exception_fp_ieee_div_zero 0
		.amdhsa_exception_fp_ieee_overflow 0
		.amdhsa_exception_fp_ieee_underflow 0
		.amdhsa_exception_fp_ieee_inexact 0
		.amdhsa_exception_int_div_zero 0
	.end_amdhsa_kernel
	.section	.text._ZN8rajaperf9polybench12poly_gesummvILm256EEEvPdS2_S2_S2_ddl,"axG",@progbits,_ZN8rajaperf9polybench12poly_gesummvILm256EEEvPdS2_S2_S2_ddl,comdat
.Lfunc_end0:
	.size	_ZN8rajaperf9polybench12poly_gesummvILm256EEEvPdS2_S2_S2_ddl, .Lfunc_end0-_ZN8rajaperf9polybench12poly_gesummvILm256EEEvPdS2_S2_S2_ddl
                                        ; -- End function
	.set _ZN8rajaperf9polybench12poly_gesummvILm256EEEvPdS2_S2_S2_ddl.num_vgpr, 14
	.set _ZN8rajaperf9polybench12poly_gesummvILm256EEEvPdS2_S2_S2_ddl.num_agpr, 0
	.set _ZN8rajaperf9polybench12poly_gesummvILm256EEEvPdS2_S2_S2_ddl.numbered_sgpr, 20
	.set _ZN8rajaperf9polybench12poly_gesummvILm256EEEvPdS2_S2_S2_ddl.num_named_barrier, 0
	.set _ZN8rajaperf9polybench12poly_gesummvILm256EEEvPdS2_S2_S2_ddl.private_seg_size, 0
	.set _ZN8rajaperf9polybench12poly_gesummvILm256EEEvPdS2_S2_S2_ddl.uses_vcc, 0
	.set _ZN8rajaperf9polybench12poly_gesummvILm256EEEvPdS2_S2_S2_ddl.uses_flat_scratch, 0
	.set _ZN8rajaperf9polybench12poly_gesummvILm256EEEvPdS2_S2_S2_ddl.has_dyn_sized_stack, 0
	.set _ZN8rajaperf9polybench12poly_gesummvILm256EEEvPdS2_S2_S2_ddl.has_recursion, 0
	.set _ZN8rajaperf9polybench12poly_gesummvILm256EEEvPdS2_S2_S2_ddl.has_indirect_call, 0
	.section	.AMDGPU.csdata,"",@progbits
; Kernel info:
; codeLenInByte = 260
; TotalNumSgprs: 20
; NumVgprs: 14
; ScratchSize: 0
; MemoryBound: 0
; FloatMode: 240
; IeeeMode: 1
; LDSByteSize: 0 bytes/workgroup (compile time only)
; SGPRBlocks: 0
; VGPRBlocks: 0
; NumSGPRsForWavesPerEU: 20
; NumVGPRsForWavesPerEU: 14
; NamedBarCnt: 0
; Occupancy: 16
; WaveLimiterHint : 0
; COMPUTE_PGM_RSRC2:SCRATCH_EN: 0
; COMPUTE_PGM_RSRC2:USER_SGPR: 2
; COMPUTE_PGM_RSRC2:TRAP_HANDLER: 0
; COMPUTE_PGM_RSRC2:TGID_X_EN: 1
; COMPUTE_PGM_RSRC2:TGID_Y_EN: 0
; COMPUTE_PGM_RSRC2:TGID_Z_EN: 0
; COMPUTE_PGM_RSRC2:TIDIG_COMP_CNT: 0
	.section	.text._ZN4RAJA8internal22HipKernelLauncherFixedILi256ENS0_8LoopDataIN4camp5tupleIJNS_4SpanINS_9Iterators16numeric_iteratorIllPlEElEESA_EEENS4_IJddEEENS3_9resources2v13HipEJZN8rajaperf9polybench17POLYBENCH_GESUMMV17runHipVariantImplILm256EEEvNSG_9VariantIDEEUlRdSL_E_ZNSJ_ILm256EEEvSK_EUlllSL_SL_E_ZNSJ_ILm256EEEvSK_EUllSL_SL_E_EEENS0_24HipStatementListExecutorISP_NS3_4listIJNS_9statement3ForILl0ENS_6policy3hip11hip_indexerINS_17iteration_mapping6DirectELNS_23kernel_sync_requirementE0EJNS_3hip11IndexGlobalILNS_9named_dimE0ELi256ELi0EEEEEEJNSS_6LambdaILl0EJNSR_IJNS0_9LambdaArgINS0_18lambda_arg_param_tELl0EEENS16_IS17_Ll1EEEEEEEEENST_ILl1ENSU_10sequential8seq_execEJNS15_ILl1EJNSR_IJNS16_INS0_16lambda_arg_seg_tELl0EEENS16_IS1E_Ll1EEEEEES1A_EEEEEENS15_ILl2EJNSR_IJS1F_EEES1A_EEEEEEEEENS0_9LoopTypesINSR_IJvvEEES1P_EEEEEEvT0_,"axG",@progbits,_ZN4RAJA8internal22HipKernelLauncherFixedILi256ENS0_8LoopDataIN4camp5tupleIJNS_4SpanINS_9Iterators16numeric_iteratorIllPlEElEESA_EEENS4_IJddEEENS3_9resources2v13HipEJZN8rajaperf9polybench17POLYBENCH_GESUMMV17runHipVariantImplILm256EEEvNSG_9VariantIDEEUlRdSL_E_ZNSJ_ILm256EEEvSK_EUlllSL_SL_E_ZNSJ_ILm256EEEvSK_EUllSL_SL_E_EEENS0_24HipStatementListExecutorISP_NS3_4listIJNS_9statement3ForILl0ENS_6policy3hip11hip_indexerINS_17iteration_mapping6DirectELNS_23kernel_sync_requirementE0EJNS_3hip11IndexGlobalILNS_9named_dimE0ELi256ELi0EEEEEEJNSS_6LambdaILl0EJNSR_IJNS0_9LambdaArgINS0_18lambda_arg_param_tELl0EEENS16_IS17_Ll1EEEEEEEEENST_ILl1ENSU_10sequential8seq_execEJNS15_ILl1EJNSR_IJNS16_INS0_16lambda_arg_seg_tELl0EEENS16_IS1E_Ll1EEEEEES1A_EEEEEENS15_ILl2EJNSR_IJS1F_EEES1A_EEEEEEEEENS0_9LoopTypesINSR_IJvvEEES1P_EEEEEEvT0_,comdat
	.protected	_ZN4RAJA8internal22HipKernelLauncherFixedILi256ENS0_8LoopDataIN4camp5tupleIJNS_4SpanINS_9Iterators16numeric_iteratorIllPlEElEESA_EEENS4_IJddEEENS3_9resources2v13HipEJZN8rajaperf9polybench17POLYBENCH_GESUMMV17runHipVariantImplILm256EEEvNSG_9VariantIDEEUlRdSL_E_ZNSJ_ILm256EEEvSK_EUlllSL_SL_E_ZNSJ_ILm256EEEvSK_EUllSL_SL_E_EEENS0_24HipStatementListExecutorISP_NS3_4listIJNS_9statement3ForILl0ENS_6policy3hip11hip_indexerINS_17iteration_mapping6DirectELNS_23kernel_sync_requirementE0EJNS_3hip11IndexGlobalILNS_9named_dimE0ELi256ELi0EEEEEEJNSS_6LambdaILl0EJNSR_IJNS0_9LambdaArgINS0_18lambda_arg_param_tELl0EEENS16_IS17_Ll1EEEEEEEEENST_ILl1ENSU_10sequential8seq_execEJNS15_ILl1EJNSR_IJNS16_INS0_16lambda_arg_seg_tELl0EEENS16_IS1E_Ll1EEEEEES1A_EEEEEENS15_ILl2EJNSR_IJS1F_EEES1A_EEEEEEEEENS0_9LoopTypesINSR_IJvvEEES1P_EEEEEEvT0_ ; -- Begin function _ZN4RAJA8internal22HipKernelLauncherFixedILi256ENS0_8LoopDataIN4camp5tupleIJNS_4SpanINS_9Iterators16numeric_iteratorIllPlEElEESA_EEENS4_IJddEEENS3_9resources2v13HipEJZN8rajaperf9polybench17POLYBENCH_GESUMMV17runHipVariantImplILm256EEEvNSG_9VariantIDEEUlRdSL_E_ZNSJ_ILm256EEEvSK_EUlllSL_SL_E_ZNSJ_ILm256EEEvSK_EUllSL_SL_E_EEENS0_24HipStatementListExecutorISP_NS3_4listIJNS_9statement3ForILl0ENS_6policy3hip11hip_indexerINS_17iteration_mapping6DirectELNS_23kernel_sync_requirementE0EJNS_3hip11IndexGlobalILNS_9named_dimE0ELi256ELi0EEEEEEJNSS_6LambdaILl0EJNSR_IJNS0_9LambdaArgINS0_18lambda_arg_param_tELl0EEENS16_IS17_Ll1EEEEEEEEENST_ILl1ENSU_10sequential8seq_execEJNS15_ILl1EJNSR_IJNS16_INS0_16lambda_arg_seg_tELl0EEENS16_IS1E_Ll1EEEEEES1A_EEEEEENS15_ILl2EJNSR_IJS1F_EEES1A_EEEEEEEEENS0_9LoopTypesINSR_IJvvEEES1P_EEEEEEvT0_
	.globl	_ZN4RAJA8internal22HipKernelLauncherFixedILi256ENS0_8LoopDataIN4camp5tupleIJNS_4SpanINS_9Iterators16numeric_iteratorIllPlEElEESA_EEENS4_IJddEEENS3_9resources2v13HipEJZN8rajaperf9polybench17POLYBENCH_GESUMMV17runHipVariantImplILm256EEEvNSG_9VariantIDEEUlRdSL_E_ZNSJ_ILm256EEEvSK_EUlllSL_SL_E_ZNSJ_ILm256EEEvSK_EUllSL_SL_E_EEENS0_24HipStatementListExecutorISP_NS3_4listIJNS_9statement3ForILl0ENS_6policy3hip11hip_indexerINS_17iteration_mapping6DirectELNS_23kernel_sync_requirementE0EJNS_3hip11IndexGlobalILNS_9named_dimE0ELi256ELi0EEEEEEJNSS_6LambdaILl0EJNSR_IJNS0_9LambdaArgINS0_18lambda_arg_param_tELl0EEENS16_IS17_Ll1EEEEEEEEENST_ILl1ENSU_10sequential8seq_execEJNS15_ILl1EJNSR_IJNS16_INS0_16lambda_arg_seg_tELl0EEENS16_IS1E_Ll1EEEEEES1A_EEEEEENS15_ILl2EJNSR_IJS1F_EEES1A_EEEEEEEEENS0_9LoopTypesINSR_IJvvEEES1P_EEEEEEvT0_
	.p2align	8
	.type	_ZN4RAJA8internal22HipKernelLauncherFixedILi256ENS0_8LoopDataIN4camp5tupleIJNS_4SpanINS_9Iterators16numeric_iteratorIllPlEElEESA_EEENS4_IJddEEENS3_9resources2v13HipEJZN8rajaperf9polybench17POLYBENCH_GESUMMV17runHipVariantImplILm256EEEvNSG_9VariantIDEEUlRdSL_E_ZNSJ_ILm256EEEvSK_EUlllSL_SL_E_ZNSJ_ILm256EEEvSK_EUllSL_SL_E_EEENS0_24HipStatementListExecutorISP_NS3_4listIJNS_9statement3ForILl0ENS_6policy3hip11hip_indexerINS_17iteration_mapping6DirectELNS_23kernel_sync_requirementE0EJNS_3hip11IndexGlobalILNS_9named_dimE0ELi256ELi0EEEEEEJNSS_6LambdaILl0EJNSR_IJNS0_9LambdaArgINS0_18lambda_arg_param_tELl0EEENS16_IS17_Ll1EEEEEEEEENST_ILl1ENSU_10sequential8seq_execEJNS15_ILl1EJNSR_IJNS16_INS0_16lambda_arg_seg_tELl0EEENS16_IS1E_Ll1EEEEEES1A_EEEEEENS15_ILl2EJNSR_IJS1F_EEES1A_EEEEEEEEENS0_9LoopTypesINSR_IJvvEEES1P_EEEEEEvT0_,@function
_ZN4RAJA8internal22HipKernelLauncherFixedILi256ENS0_8LoopDataIN4camp5tupleIJNS_4SpanINS_9Iterators16numeric_iteratorIllPlEElEESA_EEENS4_IJddEEENS3_9resources2v13HipEJZN8rajaperf9polybench17POLYBENCH_GESUMMV17runHipVariantImplILm256EEEvNSG_9VariantIDEEUlRdSL_E_ZNSJ_ILm256EEEvSK_EUlllSL_SL_E_ZNSJ_ILm256EEEvSK_EUllSL_SL_E_EEENS0_24HipStatementListExecutorISP_NS3_4listIJNS_9statement3ForILl0ENS_6policy3hip11hip_indexerINS_17iteration_mapping6DirectELNS_23kernel_sync_requirementE0EJNS_3hip11IndexGlobalILNS_9named_dimE0ELi256ELi0EEEEEEJNSS_6LambdaILl0EJNSR_IJNS0_9LambdaArgINS0_18lambda_arg_param_tELl0EEENS16_IS17_Ll1EEEEEEEEENST_ILl1ENSU_10sequential8seq_execEJNS15_ILl1EJNSR_IJNS16_INS0_16lambda_arg_seg_tELl0EEENS16_IS1E_Ll1EEEEEES1A_EEEEEENS15_ILl2EJNSR_IJS1F_EEES1A_EEEEEEEEENS0_9LoopTypesINSR_IJvvEEES1P_EEEEEEvT0_: ; @_ZN4RAJA8internal22HipKernelLauncherFixedILi256ENS0_8LoopDataIN4camp5tupleIJNS_4SpanINS_9Iterators16numeric_iteratorIllPlEElEESA_EEENS4_IJddEEENS3_9resources2v13HipEJZN8rajaperf9polybench17POLYBENCH_GESUMMV17runHipVariantImplILm256EEEvNSG_9VariantIDEEUlRdSL_E_ZNSJ_ILm256EEEvSK_EUlllSL_SL_E_ZNSJ_ILm256EEEvSK_EUllSL_SL_E_EEENS0_24HipStatementListExecutorISP_NS3_4listIJNS_9statement3ForILl0ENS_6policy3hip11hip_indexerINS_17iteration_mapping6DirectELNS_23kernel_sync_requirementE0EJNS_3hip11IndexGlobalILNS_9named_dimE0ELi256ELi0EEEEEEJNSS_6LambdaILl0EJNSR_IJNS0_9LambdaArgINS0_18lambda_arg_param_tELl0EEENS16_IS17_Ll1EEEEEEEEENST_ILl1ENSU_10sequential8seq_execEJNS15_ILl1EJNSR_IJNS16_INS0_16lambda_arg_seg_tELl0EEENS16_IS1E_Ll1EEEEEES1A_EEEEEENS15_ILl2EJNSR_IJS1F_EEES1A_EEEEEEEEENS0_9LoopTypesINSR_IJvvEEES1P_EEEEEEvT0_
; %bb.0:
	s_load_b256 s[4:11], s[0:1], 0x0
	s_bfe_u32 s2, ttmp6, 0x4000c
	s_and_b32 s3, ttmp6, 15
	s_add_co_i32 s2, s2, 1
	s_getreg_b32 s16, hwreg(HW_REG_IB_STS2, 6, 4)
	s_mul_i32 s2, ttmp9, s2
	s_load_b128 s[12:15], s[0:1], 0x20
	s_add_co_i32 s2, s3, s2
	s_cmp_eq_u32 s16, 0
	s_mov_b32 s3, 0
	s_cselect_b32 s2, ttmp9, s2
	s_delay_alu instid0(SALU_CYCLE_1) | instskip(NEXT) | instid1(SALU_CYCLE_1)
	s_lshl_b64 s[2:3], s[2:3], 8
	v_dual_mov_b32 v1, s3 :: v_dual_bitop2_b32 v0, s2, v0 bitop3:0x54
	s_wait_kmcnt 0x0
	s_sub_nc_u64 s[2:3], s[6:7], s[4:5]
	s_sub_nc_u64 s[6:7], s[10:11], s[8:9]
	s_delay_alu instid0(VALU_DEP_1) | instskip(SKIP_1) | instid1(VALU_DEP_2)
	v_cmp_gt_i64_e64 s2, s[2:3], v[0:1]
	v_cmp_lt_i64_e64 s3, s[6:7], 1
	v_cndmask_b32_e64 v3, s13, 0, s2
	v_cndmask_b32_e64 v2, s12, 0, s2
	v_cndmask_b32_e64 v5, s15, 0, s2
	v_cndmask_b32_e64 v4, s14, 0, s2
	s_and_b32 vcc_lo, exec_lo, s3
	s_cbranch_vccnz .LBB1_5
; %bb.1:
	s_clause 0x2
	s_load_b64 s[10:11], s[0:1], 0xb0
	s_load_b64 s[12:13], s[0:1], 0x58
	;; [unrolled: 1-line block ×3, first 2 shown]
	v_add_nc_u64_e32 v[6:7], s[4:5], v[0:1]
	s_lshl_b64 s[8:9], s[8:9], 3
	s_wait_kmcnt 0x0
	s_add_nc_u64 s[10:11], s[10:11], s[8:9]
	s_delay_alu instid0(VALU_DEP_1)
	v_mul_u64_e32 v[8:9], s[12:13], v[6:7]
	v_mul_u64_e32 v[10:11], s[14:15], v[6:7]
	s_clause 0x1
	s_load_b64 s[12:13], s[0:1], 0x40
	s_load_b64 s[14:15], s[0:1], 0x88
	s_wait_kmcnt 0x0
	s_add_nc_u64 s[12:13], s[12:13], s[8:9]
	s_add_nc_u64 s[8:9], s[14:15], s[8:9]
	s_delay_alu instid0(VALU_DEP_2) | instskip(NEXT) | instid1(VALU_DEP_2)
	v_lshl_add_u64 v[6:7], v[8:9], 3, s[12:13]
	v_lshl_add_u64 v[8:9], v[10:11], 3, s[10:11]
	s_mov_b64 s[10:11], 0
	s_branch .LBB1_3
.LBB1_2:                                ;   in Loop: Header=BB1_3 Depth=1
	s_or_b32 exec_lo, exec_lo, s3
	s_add_nc_u64 s[10:11], s[10:11], 1
	v_add_nc_u64_e32 v[6:7], 8, v[6:7]
	v_cmp_lt_i64_e64 s3, s[10:11], s[6:7]
	v_add_nc_u64_e32 v[8:9], 8, v[8:9]
	s_add_nc_u64 s[8:9], s[8:9], 8
	s_and_b32 vcc_lo, exec_lo, s3
	s_cbranch_vccz .LBB1_5
.LBB1_3:                                ; =>This Inner Loop Header: Depth=1
	s_and_saveexec_b32 s3, s2
	s_cbranch_execz .LBB1_2
; %bb.4:                                ;   in Loop: Header=BB1_3 Depth=1
	global_load_b64 v[10:11], v[6:7], off
	global_load_b64 v[12:13], v[8:9], off
	s_load_b64 s[12:13], s[8:9], 0x0
	s_wait_loadcnt 0x1
	s_wait_kmcnt 0x0
	v_fmac_f64_e32 v[2:3], s[12:13], v[10:11]
	s_wait_loadcnt 0x0
	v_fmac_f64_e32 v[4:5], s[12:13], v[12:13]
	s_branch .LBB1_2
.LBB1_5:
	s_clause 0x1
	s_load_b64 s[6:7], s[0:1], 0xf8
	s_load_b128 s[8:11], s[0:1], 0x120
	s_wait_xcnt 0x0
	s_and_saveexec_b32 s0, s2
	s_cbranch_execz .LBB1_7
; %bb.6:
	s_wait_kmcnt 0x0
	v_mul_f64_e32 v[4:5], s[10:11], v[4:5]
	v_lshl_add_u64 v[0:1], v[0:1], 3, s[6:7]
	s_delay_alu instid0(VALU_DEP_1) | instskip(NEXT) | instid1(VALU_DEP_3)
	v_lshl_add_u64 v[0:1], s[4:5], 3, v[0:1]
	v_fmac_f64_e32 v[4:5], s[8:9], v[2:3]
	global_store_b64 v[0:1], v[4:5], off
.LBB1_7:
	s_endpgm
	.section	.rodata,"a",@progbits
	.p2align	6, 0x0
	.amdhsa_kernel _ZN4RAJA8internal22HipKernelLauncherFixedILi256ENS0_8LoopDataIN4camp5tupleIJNS_4SpanINS_9Iterators16numeric_iteratorIllPlEElEESA_EEENS4_IJddEEENS3_9resources2v13HipEJZN8rajaperf9polybench17POLYBENCH_GESUMMV17runHipVariantImplILm256EEEvNSG_9VariantIDEEUlRdSL_E_ZNSJ_ILm256EEEvSK_EUlllSL_SL_E_ZNSJ_ILm256EEEvSK_EUllSL_SL_E_EEENS0_24HipStatementListExecutorISP_NS3_4listIJNS_9statement3ForILl0ENS_6policy3hip11hip_indexerINS_17iteration_mapping6DirectELNS_23kernel_sync_requirementE0EJNS_3hip11IndexGlobalILNS_9named_dimE0ELi256ELi0EEEEEEJNSS_6LambdaILl0EJNSR_IJNS0_9LambdaArgINS0_18lambda_arg_param_tELl0EEENS16_IS17_Ll1EEEEEEEEENST_ILl1ENSU_10sequential8seq_execEJNS15_ILl1EJNSR_IJNS16_INS0_16lambda_arg_seg_tELl0EEENS16_IS1E_Ll1EEEEEES1A_EEEEEENS15_ILl2EJNSR_IJS1F_EEES1A_EEEEEEEEENS0_9LoopTypesINSR_IJvvEEES1P_EEEEEEvT0_
		.amdhsa_group_segment_fixed_size 0
		.amdhsa_private_segment_fixed_size 0
		.amdhsa_kernarg_size 328
		.amdhsa_user_sgpr_count 2
		.amdhsa_user_sgpr_dispatch_ptr 0
		.amdhsa_user_sgpr_queue_ptr 0
		.amdhsa_user_sgpr_kernarg_segment_ptr 1
		.amdhsa_user_sgpr_dispatch_id 0
		.amdhsa_user_sgpr_kernarg_preload_length 0
		.amdhsa_user_sgpr_kernarg_preload_offset 0
		.amdhsa_user_sgpr_private_segment_size 0
		.amdhsa_wavefront_size32 1
		.amdhsa_uses_dynamic_stack 0
		.amdhsa_enable_private_segment 0
		.amdhsa_system_sgpr_workgroup_id_x 1
		.amdhsa_system_sgpr_workgroup_id_y 0
		.amdhsa_system_sgpr_workgroup_id_z 0
		.amdhsa_system_sgpr_workgroup_info 0
		.amdhsa_system_vgpr_workitem_id 0
		.amdhsa_next_free_vgpr 14
		.amdhsa_next_free_sgpr 17
		.amdhsa_named_barrier_count 0
		.amdhsa_reserve_vcc 1
		.amdhsa_float_round_mode_32 0
		.amdhsa_float_round_mode_16_64 0
		.amdhsa_float_denorm_mode_32 3
		.amdhsa_float_denorm_mode_16_64 3
		.amdhsa_fp16_overflow 0
		.amdhsa_memory_ordered 1
		.amdhsa_forward_progress 1
		.amdhsa_inst_pref_size 4
		.amdhsa_round_robin_scheduling 0
		.amdhsa_exception_fp_ieee_invalid_op 0
		.amdhsa_exception_fp_denorm_src 0
		.amdhsa_exception_fp_ieee_div_zero 0
		.amdhsa_exception_fp_ieee_overflow 0
		.amdhsa_exception_fp_ieee_underflow 0
		.amdhsa_exception_fp_ieee_inexact 0
		.amdhsa_exception_int_div_zero 0
	.end_amdhsa_kernel
	.section	.text._ZN4RAJA8internal22HipKernelLauncherFixedILi256ENS0_8LoopDataIN4camp5tupleIJNS_4SpanINS_9Iterators16numeric_iteratorIllPlEElEESA_EEENS4_IJddEEENS3_9resources2v13HipEJZN8rajaperf9polybench17POLYBENCH_GESUMMV17runHipVariantImplILm256EEEvNSG_9VariantIDEEUlRdSL_E_ZNSJ_ILm256EEEvSK_EUlllSL_SL_E_ZNSJ_ILm256EEEvSK_EUllSL_SL_E_EEENS0_24HipStatementListExecutorISP_NS3_4listIJNS_9statement3ForILl0ENS_6policy3hip11hip_indexerINS_17iteration_mapping6DirectELNS_23kernel_sync_requirementE0EJNS_3hip11IndexGlobalILNS_9named_dimE0ELi256ELi0EEEEEEJNSS_6LambdaILl0EJNSR_IJNS0_9LambdaArgINS0_18lambda_arg_param_tELl0EEENS16_IS17_Ll1EEEEEEEEENST_ILl1ENSU_10sequential8seq_execEJNS15_ILl1EJNSR_IJNS16_INS0_16lambda_arg_seg_tELl0EEENS16_IS1E_Ll1EEEEEES1A_EEEEEENS15_ILl2EJNSR_IJS1F_EEES1A_EEEEEEEEENS0_9LoopTypesINSR_IJvvEEES1P_EEEEEEvT0_,"axG",@progbits,_ZN4RAJA8internal22HipKernelLauncherFixedILi256ENS0_8LoopDataIN4camp5tupleIJNS_4SpanINS_9Iterators16numeric_iteratorIllPlEElEESA_EEENS4_IJddEEENS3_9resources2v13HipEJZN8rajaperf9polybench17POLYBENCH_GESUMMV17runHipVariantImplILm256EEEvNSG_9VariantIDEEUlRdSL_E_ZNSJ_ILm256EEEvSK_EUlllSL_SL_E_ZNSJ_ILm256EEEvSK_EUllSL_SL_E_EEENS0_24HipStatementListExecutorISP_NS3_4listIJNS_9statement3ForILl0ENS_6policy3hip11hip_indexerINS_17iteration_mapping6DirectELNS_23kernel_sync_requirementE0EJNS_3hip11IndexGlobalILNS_9named_dimE0ELi256ELi0EEEEEEJNSS_6LambdaILl0EJNSR_IJNS0_9LambdaArgINS0_18lambda_arg_param_tELl0EEENS16_IS17_Ll1EEEEEEEEENST_ILl1ENSU_10sequential8seq_execEJNS15_ILl1EJNSR_IJNS16_INS0_16lambda_arg_seg_tELl0EEENS16_IS1E_Ll1EEEEEES1A_EEEEEENS15_ILl2EJNSR_IJS1F_EEES1A_EEEEEEEEENS0_9LoopTypesINSR_IJvvEEES1P_EEEEEEvT0_,comdat
.Lfunc_end1:
	.size	_ZN4RAJA8internal22HipKernelLauncherFixedILi256ENS0_8LoopDataIN4camp5tupleIJNS_4SpanINS_9Iterators16numeric_iteratorIllPlEElEESA_EEENS4_IJddEEENS3_9resources2v13HipEJZN8rajaperf9polybench17POLYBENCH_GESUMMV17runHipVariantImplILm256EEEvNSG_9VariantIDEEUlRdSL_E_ZNSJ_ILm256EEEvSK_EUlllSL_SL_E_ZNSJ_ILm256EEEvSK_EUllSL_SL_E_EEENS0_24HipStatementListExecutorISP_NS3_4listIJNS_9statement3ForILl0ENS_6policy3hip11hip_indexerINS_17iteration_mapping6DirectELNS_23kernel_sync_requirementE0EJNS_3hip11IndexGlobalILNS_9named_dimE0ELi256ELi0EEEEEEJNSS_6LambdaILl0EJNSR_IJNS0_9LambdaArgINS0_18lambda_arg_param_tELl0EEENS16_IS17_Ll1EEEEEEEEENST_ILl1ENSU_10sequential8seq_execEJNS15_ILl1EJNSR_IJNS16_INS0_16lambda_arg_seg_tELl0EEENS16_IS1E_Ll1EEEEEES1A_EEEEEENS15_ILl2EJNSR_IJS1F_EEES1A_EEEEEEEEENS0_9LoopTypesINSR_IJvvEEES1P_EEEEEEvT0_, .Lfunc_end1-_ZN4RAJA8internal22HipKernelLauncherFixedILi256ENS0_8LoopDataIN4camp5tupleIJNS_4SpanINS_9Iterators16numeric_iteratorIllPlEElEESA_EEENS4_IJddEEENS3_9resources2v13HipEJZN8rajaperf9polybench17POLYBENCH_GESUMMV17runHipVariantImplILm256EEEvNSG_9VariantIDEEUlRdSL_E_ZNSJ_ILm256EEEvSK_EUlllSL_SL_E_ZNSJ_ILm256EEEvSK_EUllSL_SL_E_EEENS0_24HipStatementListExecutorISP_NS3_4listIJNS_9statement3ForILl0ENS_6policy3hip11hip_indexerINS_17iteration_mapping6DirectELNS_23kernel_sync_requirementE0EJNS_3hip11IndexGlobalILNS_9named_dimE0ELi256ELi0EEEEEEJNSS_6LambdaILl0EJNSR_IJNS0_9LambdaArgINS0_18lambda_arg_param_tELl0EEENS16_IS17_Ll1EEEEEEEEENST_ILl1ENSU_10sequential8seq_execEJNS15_ILl1EJNSR_IJNS16_INS0_16lambda_arg_seg_tELl0EEENS16_IS1E_Ll1EEEEEES1A_EEEEEENS15_ILl2EJNSR_IJS1F_EEES1A_EEEEEEEEENS0_9LoopTypesINSR_IJvvEEES1P_EEEEEEvT0_
                                        ; -- End function
	.set _ZN4RAJA8internal22HipKernelLauncherFixedILi256ENS0_8LoopDataIN4camp5tupleIJNS_4SpanINS_9Iterators16numeric_iteratorIllPlEElEESA_EEENS4_IJddEEENS3_9resources2v13HipEJZN8rajaperf9polybench17POLYBENCH_GESUMMV17runHipVariantImplILm256EEEvNSG_9VariantIDEEUlRdSL_E_ZNSJ_ILm256EEEvSK_EUlllSL_SL_E_ZNSJ_ILm256EEEvSK_EUllSL_SL_E_EEENS0_24HipStatementListExecutorISP_NS3_4listIJNS_9statement3ForILl0ENS_6policy3hip11hip_indexerINS_17iteration_mapping6DirectELNS_23kernel_sync_requirementE0EJNS_3hip11IndexGlobalILNS_9named_dimE0ELi256ELi0EEEEEEJNSS_6LambdaILl0EJNSR_IJNS0_9LambdaArgINS0_18lambda_arg_param_tELl0EEENS16_IS17_Ll1EEEEEEEEENST_ILl1ENSU_10sequential8seq_execEJNS15_ILl1EJNSR_IJNS16_INS0_16lambda_arg_seg_tELl0EEENS16_IS1E_Ll1EEEEEES1A_EEEEEENS15_ILl2EJNSR_IJS1F_EEES1A_EEEEEEEEENS0_9LoopTypesINSR_IJvvEEES1P_EEEEEEvT0_.num_vgpr, 14
	.set _ZN4RAJA8internal22HipKernelLauncherFixedILi256ENS0_8LoopDataIN4camp5tupleIJNS_4SpanINS_9Iterators16numeric_iteratorIllPlEElEESA_EEENS4_IJddEEENS3_9resources2v13HipEJZN8rajaperf9polybench17POLYBENCH_GESUMMV17runHipVariantImplILm256EEEvNSG_9VariantIDEEUlRdSL_E_ZNSJ_ILm256EEEvSK_EUlllSL_SL_E_ZNSJ_ILm256EEEvSK_EUllSL_SL_E_EEENS0_24HipStatementListExecutorISP_NS3_4listIJNS_9statement3ForILl0ENS_6policy3hip11hip_indexerINS_17iteration_mapping6DirectELNS_23kernel_sync_requirementE0EJNS_3hip11IndexGlobalILNS_9named_dimE0ELi256ELi0EEEEEEJNSS_6LambdaILl0EJNSR_IJNS0_9LambdaArgINS0_18lambda_arg_param_tELl0EEENS16_IS17_Ll1EEEEEEEEENST_ILl1ENSU_10sequential8seq_execEJNS15_ILl1EJNSR_IJNS16_INS0_16lambda_arg_seg_tELl0EEENS16_IS1E_Ll1EEEEEES1A_EEEEEENS15_ILl2EJNSR_IJS1F_EEES1A_EEEEEEEEENS0_9LoopTypesINSR_IJvvEEES1P_EEEEEEvT0_.num_agpr, 0
	.set _ZN4RAJA8internal22HipKernelLauncherFixedILi256ENS0_8LoopDataIN4camp5tupleIJNS_4SpanINS_9Iterators16numeric_iteratorIllPlEElEESA_EEENS4_IJddEEENS3_9resources2v13HipEJZN8rajaperf9polybench17POLYBENCH_GESUMMV17runHipVariantImplILm256EEEvNSG_9VariantIDEEUlRdSL_E_ZNSJ_ILm256EEEvSK_EUlllSL_SL_E_ZNSJ_ILm256EEEvSK_EUllSL_SL_E_EEENS0_24HipStatementListExecutorISP_NS3_4listIJNS_9statement3ForILl0ENS_6policy3hip11hip_indexerINS_17iteration_mapping6DirectELNS_23kernel_sync_requirementE0EJNS_3hip11IndexGlobalILNS_9named_dimE0ELi256ELi0EEEEEEJNSS_6LambdaILl0EJNSR_IJNS0_9LambdaArgINS0_18lambda_arg_param_tELl0EEENS16_IS17_Ll1EEEEEEEEENST_ILl1ENSU_10sequential8seq_execEJNS15_ILl1EJNSR_IJNS16_INS0_16lambda_arg_seg_tELl0EEENS16_IS1E_Ll1EEEEEES1A_EEEEEENS15_ILl2EJNSR_IJS1F_EEES1A_EEEEEEEEENS0_9LoopTypesINSR_IJvvEEES1P_EEEEEEvT0_.numbered_sgpr, 17
	.set _ZN4RAJA8internal22HipKernelLauncherFixedILi256ENS0_8LoopDataIN4camp5tupleIJNS_4SpanINS_9Iterators16numeric_iteratorIllPlEElEESA_EEENS4_IJddEEENS3_9resources2v13HipEJZN8rajaperf9polybench17POLYBENCH_GESUMMV17runHipVariantImplILm256EEEvNSG_9VariantIDEEUlRdSL_E_ZNSJ_ILm256EEEvSK_EUlllSL_SL_E_ZNSJ_ILm256EEEvSK_EUllSL_SL_E_EEENS0_24HipStatementListExecutorISP_NS3_4listIJNS_9statement3ForILl0ENS_6policy3hip11hip_indexerINS_17iteration_mapping6DirectELNS_23kernel_sync_requirementE0EJNS_3hip11IndexGlobalILNS_9named_dimE0ELi256ELi0EEEEEEJNSS_6LambdaILl0EJNSR_IJNS0_9LambdaArgINS0_18lambda_arg_param_tELl0EEENS16_IS17_Ll1EEEEEEEEENST_ILl1ENSU_10sequential8seq_execEJNS15_ILl1EJNSR_IJNS16_INS0_16lambda_arg_seg_tELl0EEENS16_IS1E_Ll1EEEEEES1A_EEEEEENS15_ILl2EJNSR_IJS1F_EEES1A_EEEEEEEEENS0_9LoopTypesINSR_IJvvEEES1P_EEEEEEvT0_.num_named_barrier, 0
	.set _ZN4RAJA8internal22HipKernelLauncherFixedILi256ENS0_8LoopDataIN4camp5tupleIJNS_4SpanINS_9Iterators16numeric_iteratorIllPlEElEESA_EEENS4_IJddEEENS3_9resources2v13HipEJZN8rajaperf9polybench17POLYBENCH_GESUMMV17runHipVariantImplILm256EEEvNSG_9VariantIDEEUlRdSL_E_ZNSJ_ILm256EEEvSK_EUlllSL_SL_E_ZNSJ_ILm256EEEvSK_EUllSL_SL_E_EEENS0_24HipStatementListExecutorISP_NS3_4listIJNS_9statement3ForILl0ENS_6policy3hip11hip_indexerINS_17iteration_mapping6DirectELNS_23kernel_sync_requirementE0EJNS_3hip11IndexGlobalILNS_9named_dimE0ELi256ELi0EEEEEEJNSS_6LambdaILl0EJNSR_IJNS0_9LambdaArgINS0_18lambda_arg_param_tELl0EEENS16_IS17_Ll1EEEEEEEEENST_ILl1ENSU_10sequential8seq_execEJNS15_ILl1EJNSR_IJNS16_INS0_16lambda_arg_seg_tELl0EEENS16_IS1E_Ll1EEEEEES1A_EEEEEENS15_ILl2EJNSR_IJS1F_EEES1A_EEEEEEEEENS0_9LoopTypesINSR_IJvvEEES1P_EEEEEEvT0_.private_seg_size, 0
	.set _ZN4RAJA8internal22HipKernelLauncherFixedILi256ENS0_8LoopDataIN4camp5tupleIJNS_4SpanINS_9Iterators16numeric_iteratorIllPlEElEESA_EEENS4_IJddEEENS3_9resources2v13HipEJZN8rajaperf9polybench17POLYBENCH_GESUMMV17runHipVariantImplILm256EEEvNSG_9VariantIDEEUlRdSL_E_ZNSJ_ILm256EEEvSK_EUlllSL_SL_E_ZNSJ_ILm256EEEvSK_EUllSL_SL_E_EEENS0_24HipStatementListExecutorISP_NS3_4listIJNS_9statement3ForILl0ENS_6policy3hip11hip_indexerINS_17iteration_mapping6DirectELNS_23kernel_sync_requirementE0EJNS_3hip11IndexGlobalILNS_9named_dimE0ELi256ELi0EEEEEEJNSS_6LambdaILl0EJNSR_IJNS0_9LambdaArgINS0_18lambda_arg_param_tELl0EEENS16_IS17_Ll1EEEEEEEEENST_ILl1ENSU_10sequential8seq_execEJNS15_ILl1EJNSR_IJNS16_INS0_16lambda_arg_seg_tELl0EEENS16_IS1E_Ll1EEEEEES1A_EEEEEENS15_ILl2EJNSR_IJS1F_EEES1A_EEEEEEEEENS0_9LoopTypesINSR_IJvvEEES1P_EEEEEEvT0_.uses_vcc, 1
	.set _ZN4RAJA8internal22HipKernelLauncherFixedILi256ENS0_8LoopDataIN4camp5tupleIJNS_4SpanINS_9Iterators16numeric_iteratorIllPlEElEESA_EEENS4_IJddEEENS3_9resources2v13HipEJZN8rajaperf9polybench17POLYBENCH_GESUMMV17runHipVariantImplILm256EEEvNSG_9VariantIDEEUlRdSL_E_ZNSJ_ILm256EEEvSK_EUlllSL_SL_E_ZNSJ_ILm256EEEvSK_EUllSL_SL_E_EEENS0_24HipStatementListExecutorISP_NS3_4listIJNS_9statement3ForILl0ENS_6policy3hip11hip_indexerINS_17iteration_mapping6DirectELNS_23kernel_sync_requirementE0EJNS_3hip11IndexGlobalILNS_9named_dimE0ELi256ELi0EEEEEEJNSS_6LambdaILl0EJNSR_IJNS0_9LambdaArgINS0_18lambda_arg_param_tELl0EEENS16_IS17_Ll1EEEEEEEEENST_ILl1ENSU_10sequential8seq_execEJNS15_ILl1EJNSR_IJNS16_INS0_16lambda_arg_seg_tELl0EEENS16_IS1E_Ll1EEEEEES1A_EEEEEENS15_ILl2EJNSR_IJS1F_EEES1A_EEEEEEEEENS0_9LoopTypesINSR_IJvvEEES1P_EEEEEEvT0_.uses_flat_scratch, 0
	.set _ZN4RAJA8internal22HipKernelLauncherFixedILi256ENS0_8LoopDataIN4camp5tupleIJNS_4SpanINS_9Iterators16numeric_iteratorIllPlEElEESA_EEENS4_IJddEEENS3_9resources2v13HipEJZN8rajaperf9polybench17POLYBENCH_GESUMMV17runHipVariantImplILm256EEEvNSG_9VariantIDEEUlRdSL_E_ZNSJ_ILm256EEEvSK_EUlllSL_SL_E_ZNSJ_ILm256EEEvSK_EUllSL_SL_E_EEENS0_24HipStatementListExecutorISP_NS3_4listIJNS_9statement3ForILl0ENS_6policy3hip11hip_indexerINS_17iteration_mapping6DirectELNS_23kernel_sync_requirementE0EJNS_3hip11IndexGlobalILNS_9named_dimE0ELi256ELi0EEEEEEJNSS_6LambdaILl0EJNSR_IJNS0_9LambdaArgINS0_18lambda_arg_param_tELl0EEENS16_IS17_Ll1EEEEEEEEENST_ILl1ENSU_10sequential8seq_execEJNS15_ILl1EJNSR_IJNS16_INS0_16lambda_arg_seg_tELl0EEENS16_IS1E_Ll1EEEEEES1A_EEEEEENS15_ILl2EJNSR_IJS1F_EEES1A_EEEEEEEEENS0_9LoopTypesINSR_IJvvEEES1P_EEEEEEvT0_.has_dyn_sized_stack, 0
	.set _ZN4RAJA8internal22HipKernelLauncherFixedILi256ENS0_8LoopDataIN4camp5tupleIJNS_4SpanINS_9Iterators16numeric_iteratorIllPlEElEESA_EEENS4_IJddEEENS3_9resources2v13HipEJZN8rajaperf9polybench17POLYBENCH_GESUMMV17runHipVariantImplILm256EEEvNSG_9VariantIDEEUlRdSL_E_ZNSJ_ILm256EEEvSK_EUlllSL_SL_E_ZNSJ_ILm256EEEvSK_EUllSL_SL_E_EEENS0_24HipStatementListExecutorISP_NS3_4listIJNS_9statement3ForILl0ENS_6policy3hip11hip_indexerINS_17iteration_mapping6DirectELNS_23kernel_sync_requirementE0EJNS_3hip11IndexGlobalILNS_9named_dimE0ELi256ELi0EEEEEEJNSS_6LambdaILl0EJNSR_IJNS0_9LambdaArgINS0_18lambda_arg_param_tELl0EEENS16_IS17_Ll1EEEEEEEEENST_ILl1ENSU_10sequential8seq_execEJNS15_ILl1EJNSR_IJNS16_INS0_16lambda_arg_seg_tELl0EEENS16_IS1E_Ll1EEEEEES1A_EEEEEENS15_ILl2EJNSR_IJS1F_EEES1A_EEEEEEEEENS0_9LoopTypesINSR_IJvvEEES1P_EEEEEEvT0_.has_recursion, 0
	.set _ZN4RAJA8internal22HipKernelLauncherFixedILi256ENS0_8LoopDataIN4camp5tupleIJNS_4SpanINS_9Iterators16numeric_iteratorIllPlEElEESA_EEENS4_IJddEEENS3_9resources2v13HipEJZN8rajaperf9polybench17POLYBENCH_GESUMMV17runHipVariantImplILm256EEEvNSG_9VariantIDEEUlRdSL_E_ZNSJ_ILm256EEEvSK_EUlllSL_SL_E_ZNSJ_ILm256EEEvSK_EUllSL_SL_E_EEENS0_24HipStatementListExecutorISP_NS3_4listIJNS_9statement3ForILl0ENS_6policy3hip11hip_indexerINS_17iteration_mapping6DirectELNS_23kernel_sync_requirementE0EJNS_3hip11IndexGlobalILNS_9named_dimE0ELi256ELi0EEEEEEJNSS_6LambdaILl0EJNSR_IJNS0_9LambdaArgINS0_18lambda_arg_param_tELl0EEENS16_IS17_Ll1EEEEEEEEENST_ILl1ENSU_10sequential8seq_execEJNS15_ILl1EJNSR_IJNS16_INS0_16lambda_arg_seg_tELl0EEENS16_IS1E_Ll1EEEEEES1A_EEEEEENS15_ILl2EJNSR_IJS1F_EEES1A_EEEEEEEEENS0_9LoopTypesINSR_IJvvEEES1P_EEEEEEvT0_.has_indirect_call, 0
	.section	.AMDGPU.csdata,"",@progbits
; Kernel info:
; codeLenInByte = 444
; TotalNumSgprs: 19
; NumVgprs: 14
; ScratchSize: 0
; MemoryBound: 1
; FloatMode: 240
; IeeeMode: 1
; LDSByteSize: 0 bytes/workgroup (compile time only)
; SGPRBlocks: 0
; VGPRBlocks: 0
; NumSGPRsForWavesPerEU: 19
; NumVGPRsForWavesPerEU: 14
; NamedBarCnt: 0
; Occupancy: 16
; WaveLimiterHint : 1
; COMPUTE_PGM_RSRC2:SCRATCH_EN: 0
; COMPUTE_PGM_RSRC2:USER_SGPR: 2
; COMPUTE_PGM_RSRC2:TRAP_HANDLER: 0
; COMPUTE_PGM_RSRC2:TGID_X_EN: 1
; COMPUTE_PGM_RSRC2:TGID_Y_EN: 0
; COMPUTE_PGM_RSRC2:TGID_Z_EN: 0
; COMPUTE_PGM_RSRC2:TIDIG_COMP_CNT: 0
	.section	.AMDGPU.gpr_maximums,"",@progbits
	.set amdgpu.max_num_vgpr, 0
	.set amdgpu.max_num_agpr, 0
	.set amdgpu.max_num_sgpr, 0
	.section	.AMDGPU.csdata,"",@progbits
	.type	__hip_cuid_e02355acbbbab86f,@object ; @__hip_cuid_e02355acbbbab86f
	.section	.bss,"aw",@nobits
	.globl	__hip_cuid_e02355acbbbab86f
__hip_cuid_e02355acbbbab86f:
	.byte	0                               ; 0x0
	.size	__hip_cuid_e02355acbbbab86f, 1

	.ident	"AMD clang version 22.0.0git (https://github.com/RadeonOpenCompute/llvm-project roc-7.2.4 26084 f58b06dce1f9c15707c5f808fd002e18c2accf7e)"
	.section	".note.GNU-stack","",@progbits
	.addrsig
	.addrsig_sym __hip_cuid_e02355acbbbab86f
	.amdgpu_metadata
---
amdhsa.kernels:
  - .args:
      - .address_space:  global
        .offset:         0
        .size:           8
        .value_kind:     global_buffer
      - .address_space:  global
        .offset:         8
        .size:           8
        .value_kind:     global_buffer
      - .address_space:  global
        .offset:         16
        .size:           8
        .value_kind:     global_buffer
      - .address_space:  global
        .offset:         24
        .size:           8
        .value_kind:     global_buffer
      - .offset:         32
        .size:           8
        .value_kind:     by_value
      - .offset:         40
        .size:           8
        .value_kind:     by_value
      - .offset:         48
        .size:           8
        .value_kind:     by_value
    .group_segment_fixed_size: 0
    .kernarg_segment_align: 8
    .kernarg_segment_size: 56
    .language:       OpenCL C
    .language_version:
      - 2
      - 0
    .max_flat_workgroup_size: 256
    .name:           _ZN8rajaperf9polybench12poly_gesummvILm256EEEvPdS2_S2_S2_ddl
    .private_segment_fixed_size: 0
    .sgpr_count:     20
    .sgpr_spill_count: 0
    .symbol:         _ZN8rajaperf9polybench12poly_gesummvILm256EEEvPdS2_S2_S2_ddl.kd
    .uniform_work_group_size: 1
    .uses_dynamic_stack: false
    .vgpr_count:     14
    .vgpr_spill_count: 0
    .wavefront_size: 32
  - .args:
      - .offset:         0
        .size:           328
        .value_kind:     by_value
    .group_segment_fixed_size: 0
    .kernarg_segment_align: 8
    .kernarg_segment_size: 328
    .language:       OpenCL C
    .language_version:
      - 2
      - 0
    .max_flat_workgroup_size: 256
    .name:           _ZN4RAJA8internal22HipKernelLauncherFixedILi256ENS0_8LoopDataIN4camp5tupleIJNS_4SpanINS_9Iterators16numeric_iteratorIllPlEElEESA_EEENS4_IJddEEENS3_9resources2v13HipEJZN8rajaperf9polybench17POLYBENCH_GESUMMV17runHipVariantImplILm256EEEvNSG_9VariantIDEEUlRdSL_E_ZNSJ_ILm256EEEvSK_EUlllSL_SL_E_ZNSJ_ILm256EEEvSK_EUllSL_SL_E_EEENS0_24HipStatementListExecutorISP_NS3_4listIJNS_9statement3ForILl0ENS_6policy3hip11hip_indexerINS_17iteration_mapping6DirectELNS_23kernel_sync_requirementE0EJNS_3hip11IndexGlobalILNS_9named_dimE0ELi256ELi0EEEEEEJNSS_6LambdaILl0EJNSR_IJNS0_9LambdaArgINS0_18lambda_arg_param_tELl0EEENS16_IS17_Ll1EEEEEEEEENST_ILl1ENSU_10sequential8seq_execEJNS15_ILl1EJNSR_IJNS16_INS0_16lambda_arg_seg_tELl0EEENS16_IS1E_Ll1EEEEEES1A_EEEEEENS15_ILl2EJNSR_IJS1F_EEES1A_EEEEEEEEENS0_9LoopTypesINSR_IJvvEEES1P_EEEEEEvT0_
    .private_segment_fixed_size: 0
    .sgpr_count:     19
    .sgpr_spill_count: 0
    .symbol:         _ZN4RAJA8internal22HipKernelLauncherFixedILi256ENS0_8LoopDataIN4camp5tupleIJNS_4SpanINS_9Iterators16numeric_iteratorIllPlEElEESA_EEENS4_IJddEEENS3_9resources2v13HipEJZN8rajaperf9polybench17POLYBENCH_GESUMMV17runHipVariantImplILm256EEEvNSG_9VariantIDEEUlRdSL_E_ZNSJ_ILm256EEEvSK_EUlllSL_SL_E_ZNSJ_ILm256EEEvSK_EUllSL_SL_E_EEENS0_24HipStatementListExecutorISP_NS3_4listIJNS_9statement3ForILl0ENS_6policy3hip11hip_indexerINS_17iteration_mapping6DirectELNS_23kernel_sync_requirementE0EJNS_3hip11IndexGlobalILNS_9named_dimE0ELi256ELi0EEEEEEJNSS_6LambdaILl0EJNSR_IJNS0_9LambdaArgINS0_18lambda_arg_param_tELl0EEENS16_IS17_Ll1EEEEEEEEENST_ILl1ENSU_10sequential8seq_execEJNS15_ILl1EJNSR_IJNS16_INS0_16lambda_arg_seg_tELl0EEENS16_IS1E_Ll1EEEEEES1A_EEEEEENS15_ILl2EJNSR_IJS1F_EEES1A_EEEEEEEEENS0_9LoopTypesINSR_IJvvEEES1P_EEEEEEvT0_.kd
    .uniform_work_group_size: 1
    .uses_dynamic_stack: false
    .vgpr_count:     14
    .vgpr_spill_count: 0
    .wavefront_size: 32
amdhsa.target:   amdgcn-amd-amdhsa--gfx1250
amdhsa.version:
  - 1
  - 2
...

	.end_amdgpu_metadata
